;; amdgpu-corpus repo=ROCm/rocFFT kind=compiled arch=gfx1201 opt=O3
	.text
	.amdgcn_target "amdgcn-amd-amdhsa--gfx1201"
	.amdhsa_code_object_version 6
	.protected	bluestein_single_fwd_len294_dim1_dp_op_CI_CI ; -- Begin function bluestein_single_fwd_len294_dim1_dp_op_CI_CI
	.globl	bluestein_single_fwd_len294_dim1_dp_op_CI_CI
	.p2align	8
	.type	bluestein_single_fwd_len294_dim1_dp_op_CI_CI,@function
bluestein_single_fwd_len294_dim1_dp_op_CI_CI: ; @bluestein_single_fwd_len294_dim1_dp_op_CI_CI
; %bb.0:
	s_load_b128 s[12:15], s[0:1], 0x28
	v_mul_u32_u24_e32 v1, 0x619, v0
	s_mov_b32 s2, exec_lo
	s_delay_alu instid0(VALU_DEP_1) | instskip(NEXT) | instid1(VALU_DEP_1)
	v_lshrrev_b32_e32 v1, 16, v1
	v_mad_co_u64_u32 v[120:121], null, ttmp9, 3, v[1:2]
	v_mov_b32_e32 v121, 0
	s_wait_kmcnt 0x0
	s_delay_alu instid0(VALU_DEP_1)
	v_cmpx_gt_u64_e64 s[12:13], v[120:121]
	s_cbranch_execz .LBB0_15
; %bb.1:
	s_clause 0x1
	s_load_b128 s[4:7], s[0:1], 0x18
	s_load_b64 s[12:13], s[0:1], 0x0
	v_mul_lo_u16 v1, v1, 42
	v_mul_hi_u32 v75, 0xaaaaaaab, v120
	s_delay_alu instid0(VALU_DEP_2) | instskip(NEXT) | instid1(VALU_DEP_1)
	v_sub_nc_u16 v74, v0, v1
	v_and_b32_e32 v123, 0xffff, v74
	s_delay_alu instid0(VALU_DEP_1)
	v_lshlrev_b32_e32 v96, 4, v123
	s_wait_kmcnt 0x0
	s_load_b128 s[8:11], s[4:5], 0x0
	s_wait_kmcnt 0x0
	v_mad_co_u64_u32 v[0:1], null, s10, v120, 0
	v_mad_co_u64_u32 v[2:3], null, s8, v123, 0
	s_mul_u64 s[2:3], s[8:9], 49
	s_delay_alu instid0(VALU_DEP_1) | instskip(NEXT) | instid1(VALU_DEP_1)
	v_mad_co_u64_u32 v[4:5], null, s11, v120, v[1:2]
	v_mad_co_u64_u32 v[5:6], null, s9, v123, v[3:4]
	v_mov_b32_e32 v1, v4
	s_delay_alu instid0(VALU_DEP_1) | instskip(NEXT) | instid1(VALU_DEP_3)
	v_lshlrev_b64_e32 v[0:1], 4, v[0:1]
	v_mov_b32_e32 v3, v5
	s_delay_alu instid0(VALU_DEP_2) | instskip(NEXT) | instid1(VALU_DEP_2)
	v_add_co_u32 v0, vcc_lo, s14, v0
	v_lshlrev_b64_e32 v[2:3], 4, v[2:3]
	s_delay_alu instid0(VALU_DEP_4) | instskip(SKIP_2) | instid1(VALU_DEP_3)
	v_add_co_ci_u32_e32 v1, vcc_lo, s15, v1, vcc_lo
	s_lshl_b64 s[14:15], s[2:3], 4
	v_add_co_u32 v121, s2, s12, v96
	v_add_co_u32 v16, vcc_lo, v0, v2
	s_wait_alu 0xfffd
	v_add_co_ci_u32_e32 v17, vcc_lo, v1, v3, vcc_lo
	s_clause 0x1
	global_load_b128 v[0:3], v96, s[12:13]
	global_load_b128 v[4:7], v96, s[12:13] offset:784
	s_wait_alu 0xfffe
	v_add_co_u32 v18, vcc_lo, v16, s14
	s_wait_alu 0xfffd
	v_add_co_ci_u32_e32 v19, vcc_lo, s15, v17, vcc_lo
	s_clause 0x1
	global_load_b128 v[8:11], v96, s[12:13] offset:1568
	global_load_b128 v[12:15], v96, s[12:13] offset:2352
	v_add_co_u32 v20, vcc_lo, v18, s14
	s_wait_alu 0xfffd
	v_add_co_ci_u32_e32 v21, vcc_lo, s15, v19, vcc_lo
	global_load_b128 v[26:29], v[16:17], off
	v_add_co_u32 v22, vcc_lo, v20, s14
	s_wait_alu 0xfffd
	v_add_co_ci_u32_e32 v23, vcc_lo, s15, v21, vcc_lo
	s_clause 0x1
	global_load_b128 v[30:33], v[18:19], off
	global_load_b128 v[34:37], v[20:21], off
	v_add_co_u32 v16, vcc_lo, v22, s14
	s_wait_alu 0xfffd
	v_add_co_ci_u32_e32 v17, vcc_lo, s15, v23, vcc_lo
	v_add_co_ci_u32_e64 v122, null, s13, 0, s2
	s_delay_alu instid0(VALU_DEP_3) | instskip(SKIP_1) | instid1(VALU_DEP_3)
	v_add_co_u32 v24, vcc_lo, v16, s14
	s_wait_alu 0xfffd
	v_add_co_ci_u32_e32 v25, vcc_lo, s15, v17, vcc_lo
	s_clause 0x1
	global_load_b128 v[38:41], v[22:23], off
	global_load_b128 v[42:45], v[16:17], off
	s_clause 0x1
	global_load_b128 v[16:19], v96, s[12:13] offset:3136
	global_load_b128 v[20:23], v96, s[12:13] offset:3920
	global_load_b128 v[46:49], v[24:25], off
	s_load_b64 s[10:11], s[0:1], 0x38
	s_load_b128 s[4:7], s[6:7], 0x0
	v_cmp_gt_u16_e32 vcc_lo, 7, v74
	s_wait_loadcnt 0x7
	v_mul_f64_e32 v[50:51], v[28:29], v[2:3]
	v_mul_f64_e32 v[52:53], v[26:27], v[2:3]
	s_wait_loadcnt 0x6
	v_mul_f64_e32 v[54:55], v[32:33], v[6:7]
	s_wait_loadcnt 0x5
	v_mul_f64_e32 v[58:59], v[36:37], v[10:11]
	v_mul_f64_e32 v[60:61], v[34:35], v[10:11]
	;; [unrolled: 1-line block ×3, first 2 shown]
	s_wait_loadcnt 0x4
	v_mul_f64_e32 v[62:63], v[40:41], v[14:15]
	v_mul_f64_e32 v[64:65], v[38:39], v[14:15]
	s_wait_loadcnt 0x2
	v_mul_f64_e32 v[66:67], v[44:45], v[18:19]
	v_mul_f64_e32 v[68:69], v[42:43], v[18:19]
	s_wait_loadcnt 0x0
	v_mul_f64_e32 v[70:71], v[48:49], v[22:23]
	v_mul_f64_e32 v[72:73], v[46:47], v[22:23]
	v_fma_f64 v[26:27], v[26:27], v[0:1], v[50:51]
	v_fma_f64 v[28:29], v[28:29], v[0:1], -v[52:53]
	v_lshrrev_b32_e32 v50, 1, v75
	v_fma_f64 v[30:31], v[30:31], v[4:5], v[54:55]
	v_fma_f64 v[34:35], v[34:35], v[8:9], v[58:59]
	v_fma_f64 v[36:37], v[36:37], v[8:9], -v[60:61]
	v_fma_f64 v[32:33], v[32:33], v[4:5], -v[56:57]
	v_lshl_add_u32 v50, v50, 1, v50
	v_fma_f64 v[38:39], v[38:39], v[12:13], v[62:63]
	v_fma_f64 v[40:41], v[40:41], v[12:13], -v[64:65]
	v_fma_f64 v[42:43], v[42:43], v[16:17], v[66:67]
	v_fma_f64 v[44:45], v[44:45], v[16:17], -v[68:69]
	;; [unrolled: 2-line block ×3, first 2 shown]
	v_sub_nc_u32_e32 v50, v120, v50
	s_delay_alu instid0(VALU_DEP_1) | instskip(NEXT) | instid1(VALU_DEP_1)
	v_mul_u32_u24_e32 v50, 0x126, v50
	v_lshlrev_b32_e32 v125, 4, v50
	s_delay_alu instid0(VALU_DEP_1)
	v_add_nc_u32_e32 v124, v96, v125
	ds_store_b128 v124, v[26:29]
	ds_store_b128 v124, v[30:33] offset:784
	ds_store_b128 v124, v[34:37] offset:1568
	;; [unrolled: 1-line block ×5, first 2 shown]
	s_and_saveexec_b32 s3, vcc_lo
	s_cbranch_execz .LBB0_3
; %bb.2:
	v_mad_co_u64_u32 v[40:41], null, 0xfffff350, s8, v[24:25]
	s_mul_i32 s2, s9, 0xfffff350
	s_clause 0x1
	global_load_b128 v[24:27], v[121:122], off offset:672
	global_load_b128 v[28:31], v[121:122], off offset:1456
	s_wait_alu 0xfffe
	s_sub_co_i32 s2, s2, s8
	s_clause 0x1
	global_load_b128 v[32:35], v[121:122], off offset:2240
	global_load_b128 v[36:39], v[121:122], off offset:3024
	s_wait_alu 0xfffe
	v_add_nc_u32_e32 v41, s2, v41
	v_add_co_u32 v44, s2, v40, s14
	s_wait_alu 0xf1ff
	s_delay_alu instid0(VALU_DEP_2) | instskip(NEXT) | instid1(VALU_DEP_2)
	v_add_co_ci_u32_e64 v45, s2, s15, v41, s2
	v_add_co_u32 v48, s2, v44, s14
	global_load_b128 v[40:43], v[40:41], off
	s_wait_alu 0xf1ff
	v_add_co_ci_u32_e64 v49, s2, s15, v45, s2
	v_add_co_u32 v52, s2, v48, s14
	global_load_b128 v[44:47], v[44:45], off
	s_wait_alu 0xf1ff
	v_add_co_ci_u32_e64 v53, s2, s15, v49, s2
	v_add_co_u32 v56, s2, v52, s14
	global_load_b128 v[48:51], v[48:49], off
	s_wait_alu 0xf1ff
	v_add_co_ci_u32_e64 v57, s2, s15, v53, s2
	v_add_co_u32 v68, s2, v56, s14
	s_wait_alu 0xf1ff
	s_delay_alu instid0(VALU_DEP_2)
	v_add_co_ci_u32_e64 v69, s2, s15, v57, s2
	global_load_b128 v[52:55], v[52:53], off
	global_load_b128 v[56:59], v[56:57], off
	s_clause 0x1
	global_load_b128 v[60:63], v[121:122], off offset:3808
	global_load_b128 v[64:67], v[121:122], off offset:4592
	global_load_b128 v[68:71], v[68:69], off
	s_wait_loadcnt 0x7
	v_mul_f64_e32 v[72:73], v[42:43], v[26:27]
	v_mul_f64_e32 v[26:27], v[40:41], v[26:27]
	s_wait_loadcnt 0x6
	v_mul_f64_e32 v[74:75], v[46:47], v[30:31]
	v_mul_f64_e32 v[30:31], v[44:45], v[30:31]
	;; [unrolled: 3-line block ×6, first 2 shown]
	v_fma_f64 v[38:39], v[40:41], v[24:25], v[72:73]
	v_fma_f64 v[40:41], v[42:43], v[24:25], -v[26:27]
	v_fma_f64 v[24:25], v[44:45], v[28:29], v[74:75]
	v_fma_f64 v[26:27], v[46:47], v[28:29], -v[30:31]
	;; [unrolled: 2-line block ×6, first 2 shown]
	ds_store_b128 v124, v[38:41] offset:672
	ds_store_b128 v124, v[24:27] offset:1456
	;; [unrolled: 1-line block ×6, first 2 shown]
.LBB0_3:
	s_wait_alu 0xfffe
	s_or_b32 exec_lo, exec_lo, s3
	global_wb scope:SCOPE_SE
	s_wait_dscnt 0x0
	s_wait_kmcnt 0x0
	s_barrier_signal -1
	s_barrier_wait -1
	global_inv scope:SCOPE_SE
	ds_load_b128 v[36:39], v124
	ds_load_b128 v[44:47], v124 offset:784
	ds_load_b128 v[40:43], v124 offset:1568
	;; [unrolled: 1-line block ×5, first 2 shown]
	s_load_b64 s[0:1], s[0:1], 0x8
                                        ; implicit-def: $vgpr32_vgpr33
                                        ; implicit-def: $vgpr52_vgpr53
                                        ; implicit-def: $vgpr56_vgpr57
                                        ; implicit-def: $vgpr68_vgpr69
                                        ; implicit-def: $vgpr60_vgpr61
                                        ; implicit-def: $vgpr64_vgpr65
	s_and_saveexec_b32 s2, vcc_lo
	s_cbranch_execz .LBB0_5
; %bb.4:
	ds_load_b128 v[32:35], v124 offset:672
	ds_load_b128 v[52:55], v124 offset:1456
	;; [unrolled: 1-line block ×6, first 2 shown]
.LBB0_5:
	s_wait_alu 0xfffe
	s_or_b32 exec_lo, exec_lo, s2
	s_wait_dscnt 0x0
	v_add_f64_e32 v[72:73], v[50:51], v[26:27]
	v_add_f64_e32 v[74:75], v[48:49], v[24:25]
	;; [unrolled: 1-line block ×4, first 2 shown]
	v_add_f64_e64 v[80:81], v[50:51], -v[26:27]
	v_add_f64_e64 v[82:83], v[48:49], -v[24:25]
	;; [unrolled: 1-line block ×4, first 2 shown]
	s_mov_b32 s2, 0xe8584caa
	s_mov_b32 s3, 0x3febb67a
	s_mov_b32 s9, 0xbfebb67a
	s_wait_alu 0xfffe
	s_mov_b32 s8, s2
	v_add_f64_e32 v[88:89], v[40:41], v[28:29]
	v_add_f64_e32 v[90:91], v[42:43], v[30:31]
	global_wb scope:SCOPE_SE
	s_wait_kmcnt 0x0
	s_barrier_signal -1
	s_barrier_wait -1
	global_inv scope:SCOPE_SE
	v_fma_f64 v[72:73], v[72:73], -0.5, v[46:47]
	v_fma_f64 v[74:75], v[74:75], -0.5, v[44:45]
	;; [unrolled: 1-line block ×4, first 2 shown]
	v_add_f64_e32 v[44:45], v[44:45], v[48:49]
	v_add_f64_e32 v[46:47], v[46:47], v[50:51]
	;; [unrolled: 1-line block ×6, first 2 shown]
	s_wait_alu 0xfffe
	v_fma_f64 v[92:93], v[82:83], s[8:9], v[72:73]
	v_fma_f64 v[94:95], v[80:81], s[8:9], v[74:75]
	;; [unrolled: 1-line block ×4, first 2 shown]
	v_add_f64_e32 v[80:81], v[56:57], v[60:61]
	v_add_f64_e32 v[82:83], v[58:59], v[62:63]
	v_fma_f64 v[97:98], v[86:87], s[8:9], v[76:77]
	v_fma_f64 v[99:100], v[84:85], s[8:9], v[78:79]
	;; [unrolled: 1-line block ×4, first 2 shown]
	v_add_f64_e32 v[84:85], v[36:37], v[40:41]
	v_add_f64_e64 v[86:87], v[42:43], -v[30:31]
	v_add_f64_e32 v[42:43], v[38:39], v[42:43]
	v_fma_f64 v[36:37], v[88:89], -0.5, v[36:37]
	v_add_f64_e64 v[40:41], v[40:41], -v[28:29]
	v_fma_f64 v[38:39], v[90:91], -0.5, v[38:39]
	v_add_f64_e64 v[58:59], v[58:59], -v[62:63]
	v_add_f64_e64 v[56:57], v[56:57], -v[60:61]
	v_add_f64_e32 v[24:25], v[44:45], v[24:25]
	v_add_f64_e32 v[26:27], v[46:47], v[26:27]
	v_mul_f64_e32 v[68:69], s[2:3], v[92:93]
	v_mul_f64_e32 v[70:71], -0.5, v[94:95]
	v_mul_f64_e32 v[88:89], s[8:9], v[74:75]
	v_mul_f64_e32 v[90:91], -0.5, v[72:73]
	v_fma_f64 v[80:81], v[80:81], -0.5, v[32:33]
	v_fma_f64 v[82:83], v[82:83], -0.5, v[34:35]
	v_mul_f64_e32 v[101:102], s[2:3], v[97:98]
	v_mul_f64_e32 v[103:104], -0.5, v[99:100]
	v_mul_f64_e32 v[105:106], s[8:9], v[78:79]
	v_mul_f64_e32 v[107:108], -0.5, v[76:77]
	v_add_f64_e32 v[84:85], v[84:85], v[28:29]
	v_add_f64_e32 v[28:29], v[48:49], v[60:61]
	;; [unrolled: 1-line block ×6, first 2 shown]
	v_fma_f64 v[44:45], v[86:87], s[2:3], v[36:37]
	v_fma_f64 v[46:47], v[86:87], s[8:9], v[36:37]
	;; [unrolled: 1-line block ×4, first 2 shown]
	v_fma_f64 v[50:51], v[74:75], 0.5, v[68:69]
	v_fma_f64 v[71:72], v[72:73], s[2:3], v[70:71]
	v_fma_f64 v[86:87], v[92:93], 0.5, v[88:89]
	v_fma_f64 v[88:89], v[94:95], s[8:9], v[90:91]
	v_fma_f64 v[90:91], v[58:59], s[2:3], v[80:81]
	;; [unrolled: 1-line block ×5, first 2 shown]
	v_fma_f64 v[78:79], v[78:79], 0.5, v[101:102]
	v_fma_f64 v[94:95], v[76:77], s[2:3], v[103:104]
	v_fma_f64 v[97:98], v[97:98], 0.5, v[105:106]
	v_fma_f64 v[99:100], v[99:100], s[8:9], v[107:108]
	v_add_f64_e32 v[52:53], v[84:85], v[24:25]
	v_add_f64_e32 v[54:55], v[42:43], v[26:27]
	v_add_f64_e64 v[56:57], v[84:85], -v[24:25]
	v_add_f64_e64 v[58:59], v[42:43], -v[26:27]
	;; [unrolled: 1-line block ×4, first 2 shown]
	v_mul_u32_u24_e32 v68, 6, v123
	v_add_co_u32 v77, null, v123, 42
	s_delay_alu instid0(VALU_DEP_2) | instskip(NEXT) | instid1(VALU_DEP_2)
	v_lshl_add_u32 v127, v68, 4, v125
	v_mul_u32_u24_e32 v126, 6, v77
	v_add_f64_e32 v[60:61], v[44:45], v[50:51]
	v_add_f64_e32 v[64:65], v[46:47], v[71:72]
	;; [unrolled: 1-line block ×4, first 2 shown]
	v_add_f64_e64 v[69:70], v[44:45], -v[50:51]
	v_add_f64_e64 v[73:74], v[46:47], -v[71:72]
	;; [unrolled: 1-line block ×4, first 2 shown]
	v_add_f64_e32 v[24:25], v[90:91], v[78:79]
	v_add_f64_e32 v[40:41], v[80:81], v[94:95]
	;; [unrolled: 1-line block ×4, first 2 shown]
	v_add_f64_e64 v[44:45], v[90:91], -v[78:79]
	v_add_f64_e64 v[48:49], v[80:81], -v[94:95]
	;; [unrolled: 1-line block ×4, first 2 shown]
	ds_store_b128 v127, v[52:55]
	ds_store_b128 v127, v[60:63] offset:16
	ds_store_b128 v127, v[64:67] offset:32
	;; [unrolled: 1-line block ×5, first 2 shown]
	s_and_saveexec_b32 s2, vcc_lo
	s_cbranch_execz .LBB0_7
; %bb.6:
	v_add_f64_e32 v[32:33], v[32:33], v[34:35]
	v_add_f64_e32 v[30:31], v[28:29], v[30:31]
	v_lshl_add_u32 v28, v126, 4, v125
	ds_store_b128 v28, v[40:43] offset:32
	ds_store_b128 v28, v[36:39] offset:48
	ds_store_b128 v28, v[30:33]
	ds_store_b128 v28, v[24:27] offset:16
	ds_store_b128 v28, v[44:47] offset:64
	;; [unrolled: 1-line block ×3, first 2 shown]
.LBB0_7:
	s_wait_alu 0xfffe
	s_or_b32 exec_lo, exec_lo, s2
	v_and_b32_e32 v28, 0xff, v123
	global_wb scope:SCOPE_SE
	s_wait_dscnt 0x0
	s_barrier_signal -1
	s_barrier_wait -1
	global_inv scope:SCOPE_SE
	v_mul_lo_u16 v28, 0xab, v28
	s_mov_b32 s8, 0x37e14327
	s_mov_b32 s14, 0xe976ee23
	;; [unrolled: 1-line block ×4, first 2 shown]
	v_lshrrev_b16 v95, 10, v28
	s_mov_b32 s2, 0x429ad128
	s_mov_b32 s3, 0x3febfeb5
	;; [unrolled: 1-line block ×4, first 2 shown]
	v_mul_lo_u16 v28, v95, 6
	s_mov_b32 s18, 0xaaaaaaaa
	s_mov_b32 s24, 0xb247c609
	;; [unrolled: 1-line block ×4, first 2 shown]
	v_sub_nc_u16 v28, v123, v28
	s_mov_b32 s25, 0x3fd5d0dc
	s_mov_b32 s21, 0x3fe77f67
	;; [unrolled: 1-line block ×4, first 2 shown]
	v_and_b32_e32 v119, 0xff, v28
	s_mov_b32 s22, s20
	s_mov_b32 s26, s24
	;; [unrolled: 1-line block ×4, first 2 shown]
	v_mul_u32_u24_e32 v28, 6, v119
	s_delay_alu instid0(VALU_DEP_1)
	v_lshlrev_b32_e32 v56, 4, v28
	s_clause 0x5
	global_load_b128 v[32:35], v56, s[0:1]
	global_load_b128 v[28:31], v56, s[0:1] offset:16
	global_load_b128 v[52:55], v56, s[0:1] offset:80
	;; [unrolled: 1-line block ×5, first 2 shown]
	ds_load_b128 v[69:72], v124 offset:672
	ds_load_b128 v[73:76], v124 offset:1344
	;; [unrolled: 1-line block ×6, first 2 shown]
	s_wait_loadcnt_dscnt 0x505
	v_mul_f64_e32 v[93:94], v[71:72], v[34:35]
	v_mul_f64_e32 v[97:98], v[69:70], v[34:35]
	s_wait_loadcnt_dscnt 0x404
	v_mul_f64_e32 v[99:100], v[75:76], v[30:31]
	v_mul_f64_e32 v[101:102], v[73:74], v[30:31]
	;; [unrolled: 3-line block ×6, first 2 shown]
	v_fma_f64 v[69:70], v[69:70], v[32:33], -v[93:94]
	v_fma_f64 v[71:72], v[71:72], v[32:33], v[97:98]
	v_fma_f64 v[73:74], v[73:74], v[28:29], -v[99:100]
	v_fma_f64 v[75:76], v[75:76], v[28:29], v[101:102]
	;; [unrolled: 2-line block ×6, first 2 shown]
	v_add_f64_e32 v[93:94], v[69:70], v[77:78]
	v_add_f64_e32 v[97:98], v[71:72], v[79:80]
	v_add_f64_e32 v[99:100], v[73:74], v[81:82]
	v_add_f64_e32 v[101:102], v[75:76], v[83:84]
	v_add_f64_e64 v[73:74], v[73:74], -v[81:82]
	v_add_f64_e64 v[75:76], v[75:76], -v[83:84]
	v_add_f64_e32 v[81:82], v[85:86], v[89:90]
	v_add_f64_e32 v[83:84], v[87:88], v[91:92]
	v_add_f64_e64 v[85:86], v[89:90], -v[85:86]
	v_add_f64_e64 v[87:88], v[91:92], -v[87:88]
	;; [unrolled: 1-line block ×4, first 2 shown]
	v_add_f64_e32 v[69:70], v[99:100], v[93:94]
	v_add_f64_e32 v[71:72], v[101:102], v[97:98]
	v_add_f64_e64 v[89:90], v[93:94], -v[81:82]
	v_add_f64_e64 v[91:92], v[97:98], -v[83:84]
	;; [unrolled: 1-line block ×6, first 2 shown]
	v_add_f64_e32 v[73:74], v[85:86], v[73:74]
	v_add_f64_e32 v[75:76], v[87:88], v[75:76]
	v_add_f64_e64 v[85:86], v[77:78], -v[85:86]
	v_add_f64_e64 v[87:88], v[79:80], -v[87:88]
	v_add_f64_e64 v[93:94], v[99:100], -v[93:94]
	v_add_f64_e64 v[97:98], v[101:102], -v[97:98]
	v_add_f64_e32 v[111:112], v[81:82], v[69:70]
	v_add_f64_e32 v[113:114], v[83:84], v[71:72]
	v_add_f64_e64 v[81:82], v[81:82], -v[99:100]
	v_add_f64_e64 v[83:84], v[83:84], -v[101:102]
	ds_load_b128 v[69:72], v124
	s_wait_alu 0xfffe
	v_mul_f64_e32 v[89:90], s[8:9], v[89:90]
	v_mul_f64_e32 v[91:92], s[8:9], v[91:92]
	;; [unrolled: 1-line block ×6, first 2 shown]
	v_add_f64_e32 v[73:74], v[73:74], v[77:78]
	v_add_f64_e32 v[75:76], v[75:76], v[79:80]
	global_wb scope:SCOPE_SE
	s_wait_dscnt 0x0
	s_barrier_signal -1
	s_barrier_wait -1
	global_inv scope:SCOPE_SE
	v_add_f64_e32 v[69:70], v[69:70], v[111:112]
	v_add_f64_e32 v[71:72], v[71:72], v[113:114]
	v_mul_f64_e32 v[99:100], s[16:17], v[81:82]
	v_mul_f64_e32 v[101:102], s[16:17], v[83:84]
	v_fma_f64 v[77:78], v[81:82], s[16:17], v[89:90]
	v_fma_f64 v[79:80], v[83:84], s[16:17], v[91:92]
	;; [unrolled: 1-line block ×4, first 2 shown]
	v_fma_f64 v[103:104], v[107:108], s[2:3], -v[103:104]
	v_fma_f64 v[105:106], v[109:110], s[2:3], -v[105:106]
	v_fma_f64 v[85:86], v[85:86], s[26:27], -v[115:116]
	v_fma_f64 v[87:88], v[87:88], s[26:27], -v[117:118]
	v_fma_f64 v[89:90], v[93:94], s[22:23], -v[89:90]
	v_fma_f64 v[91:92], v[97:98], s[22:23], -v[91:92]
	v_fma_f64 v[107:108], v[111:112], s[18:19], v[69:70]
	v_fma_f64 v[109:110], v[113:114], s[18:19], v[71:72]
	v_fma_f64 v[93:94], v[93:94], s[20:21], -v[99:100]
	v_fma_f64 v[97:98], v[97:98], s[20:21], -v[101:102]
	v_fma_f64 v[99:100], v[73:74], s[28:29], v[81:82]
	v_fma_f64 v[101:102], v[75:76], s[28:29], v[83:84]
	;; [unrolled: 1-line block ×6, first 2 shown]
	v_add_f64_e32 v[115:116], v[77:78], v[107:108]
	v_add_f64_e32 v[117:118], v[79:80], v[109:110]
	;; [unrolled: 1-line block ×6, first 2 shown]
	v_and_b32_e32 v93, 0xffff, v95
	v_lshlrev_b32_e32 v94, 4, v68
	s_delay_alu instid0(VALU_DEP_2) | instskip(NEXT) | instid1(VALU_DEP_1)
	v_mul_u32_u24_e32 v93, 42, v93
	v_add_nc_u32_e32 v93, v93, v119
	s_delay_alu instid0(VALU_DEP_1)
	v_lshl_add_u32 v128, v93, 4, v125
	v_add_f64_e32 v[73:74], v[101:102], v[115:116]
	v_add_f64_e64 v[75:76], v[117:118], -v[99:100]
	v_add_f64_e32 v[77:78], v[113:114], v[89:90]
	v_add_f64_e64 v[79:80], v[91:92], -v[111:112]
	v_add_f64_e64 v[81:82], v[85:86], -v[105:106]
	v_add_f64_e32 v[83:84], v[103:104], v[87:88]
	v_add_f64_e32 v[85:86], v[105:106], v[85:86]
	v_add_f64_e64 v[87:88], v[87:88], -v[103:104]
	v_add_f64_e64 v[89:90], v[89:90], -v[113:114]
	v_add_f64_e32 v[91:92], v[111:112], v[91:92]
	v_add_f64_e64 v[97:98], v[115:116], -v[101:102]
	v_add_f64_e32 v[99:100], v[99:100], v[117:118]
	ds_store_b128 v128, v[69:72]
	ds_store_b128 v128, v[73:76] offset:96
	ds_store_b128 v128, v[77:80] offset:192
	;; [unrolled: 1-line block ×6, first 2 shown]
	global_wb scope:SCOPE_SE
	s_wait_dscnt 0x0
	s_barrier_signal -1
	s_barrier_wait -1
	global_inv scope:SCOPE_SE
	s_clause 0x5
	global_load_b128 v[72:75], v94, s[0:1] offset:576
	global_load_b128 v[68:71], v94, s[0:1] offset:592
	;; [unrolled: 1-line block ×6, first 2 shown]
	ds_load_b128 v[92:95], v124 offset:672
	ds_load_b128 v[97:100], v124 offset:1344
	;; [unrolled: 1-line block ×6, first 2 shown]
	s_add_nc_u64 s[0:1], s[12:13], 0x1260
	s_wait_loadcnt_dscnt 0x505
	v_mul_f64_e32 v[117:118], v[94:95], v[74:75]
	v_mul_f64_e32 v[129:130], v[92:93], v[74:75]
	s_wait_loadcnt_dscnt 0x404
	v_mul_f64_e32 v[131:132], v[99:100], v[70:71]
	v_mul_f64_e32 v[133:134], v[97:98], v[70:71]
	;; [unrolled: 3-line block ×6, first 2 shown]
	v_fma_f64 v[92:93], v[92:93], v[72:73], -v[117:118]
	v_fma_f64 v[94:95], v[94:95], v[72:73], v[129:130]
	v_fma_f64 v[97:98], v[97:98], v[68:69], -v[131:132]
	v_fma_f64 v[99:100], v[99:100], v[68:69], v[133:134]
	;; [unrolled: 2-line block ×6, first 2 shown]
	v_add_f64_e32 v[117:118], v[92:93], v[101:102]
	v_add_f64_e32 v[129:130], v[94:95], v[103:104]
	v_add_f64_e32 v[131:132], v[97:98], v[105:106]
	v_add_f64_e32 v[133:134], v[99:100], v[107:108]
	v_add_f64_e64 v[97:98], v[97:98], -v[105:106]
	v_add_f64_e64 v[99:100], v[99:100], -v[107:108]
	v_add_f64_e32 v[105:106], v[109:110], v[113:114]
	v_add_f64_e32 v[107:108], v[111:112], v[115:116]
	v_add_f64_e64 v[109:110], v[113:114], -v[109:110]
	v_add_f64_e64 v[111:112], v[115:116], -v[111:112]
	;; [unrolled: 1-line block ×4, first 2 shown]
	v_add_f64_e32 v[92:93], v[131:132], v[117:118]
	v_add_f64_e32 v[94:95], v[133:134], v[129:130]
	v_add_f64_e64 v[113:114], v[117:118], -v[105:106]
	v_add_f64_e64 v[115:116], v[129:130], -v[107:108]
	;; [unrolled: 1-line block ×6, first 2 shown]
	v_add_f64_e32 v[147:148], v[109:110], v[97:98]
	v_add_f64_e32 v[149:150], v[111:112], v[99:100]
	v_add_f64_e64 v[109:110], v[101:102], -v[109:110]
	v_add_f64_e64 v[111:112], v[103:104], -v[111:112]
	v_add_f64_e32 v[143:144], v[105:106], v[92:93]
	v_add_f64_e32 v[145:146], v[107:108], v[94:95]
	v_add_f64_e64 v[105:106], v[105:106], -v[131:132]
	v_add_f64_e64 v[107:108], v[107:108], -v[133:134]
	ds_load_b128 v[92:95], v124
	v_mul_f64_e32 v[113:114], s[8:9], v[113:114]
	v_mul_f64_e32 v[115:116], s[8:9], v[115:116]
	;; [unrolled: 1-line block ×6, first 2 shown]
	v_add_f64_e32 v[101:102], v[147:148], v[101:102]
	v_add_f64_e32 v[103:104], v[149:150], v[103:104]
	s_wait_dscnt 0x0
	v_add_f64_e32 v[97:98], v[92:93], v[143:144]
	v_add_f64_e32 v[99:100], v[94:95], v[145:146]
	v_add_f64_e64 v[92:93], v[131:132], -v[117:118]
	v_add_f64_e64 v[94:95], v[133:134], -v[129:130]
	v_mul_f64_e32 v[117:118], s[16:17], v[105:106]
	v_mul_f64_e32 v[129:130], s[16:17], v[107:108]
	v_fma_f64 v[105:106], v[105:106], s[16:17], v[113:114]
	v_fma_f64 v[107:108], v[107:108], s[16:17], v[115:116]
	;; [unrolled: 1-line block ×4, first 2 shown]
	v_fma_f64 v[135:136], v[139:140], s[2:3], -v[135:136]
	v_fma_f64 v[137:138], v[141:142], s[2:3], -v[137:138]
	v_fma_f64 v[109:110], v[109:110], s[26:27], -v[151:152]
	v_fma_f64 v[111:112], v[111:112], s[26:27], -v[153:154]
	v_fma_f64 v[139:140], v[143:144], s[18:19], v[97:98]
	v_fma_f64 v[141:142], v[145:146], s[18:19], v[99:100]
	v_fma_f64 v[113:114], v[92:93], s[22:23], -v[113:114]
	v_fma_f64 v[115:116], v[94:95], s[22:23], -v[115:116]
	;; [unrolled: 1-line block ×4, first 2 shown]
	v_fma_f64 v[117:118], v[101:102], s[28:29], v[131:132]
	v_fma_f64 v[133:134], v[103:104], s[28:29], v[133:134]
	;; [unrolled: 1-line block ×6, first 2 shown]
	v_add_f64_e32 v[143:144], v[105:106], v[139:140]
	v_add_f64_e32 v[145:146], v[107:108], v[141:142]
	;; [unrolled: 1-line block ×7, first 2 shown]
	v_add_f64_e64 v[103:104], v[145:146], -v[117:118]
	v_add_f64_e32 v[105:106], v[137:138], v[147:148]
	v_add_f64_e64 v[107:108], v[149:150], -v[135:136]
	v_add_f64_e64 v[109:110], v[92:93], -v[131:132]
	v_add_f64_e32 v[111:112], v[129:130], v[94:95]
	v_add_f64_e32 v[113:114], v[131:132], v[92:93]
	v_add_f64_e64 v[115:116], v[94:95], -v[129:130]
	v_add_f64_e64 v[129:130], v[147:148], -v[137:138]
	v_add_f64_e32 v[131:132], v[135:136], v[149:150]
	v_add_f64_e64 v[92:93], v[143:144], -v[133:134]
	v_add_f64_e32 v[94:95], v[117:118], v[145:146]
	ds_store_b128 v124, v[97:100]
	ds_store_b128 v124, v[101:104] offset:672
	ds_store_b128 v124, v[105:108] offset:1344
	;; [unrolled: 1-line block ×6, first 2 shown]
	global_wb scope:SCOPE_SE
	s_wait_dscnt 0x0
	s_barrier_signal -1
	s_barrier_wait -1
	global_inv scope:SCOPE_SE
	s_clause 0x5
	global_load_b128 v[97:100], v[121:122], off offset:4704
	global_load_b128 v[101:104], v96, s[0:1] offset:784
	global_load_b128 v[105:108], v96, s[0:1] offset:1568
	;; [unrolled: 1-line block ×5, first 2 shown]
	ds_load_b128 v[133:136], v124
	ds_load_b128 v[137:140], v124 offset:784
	ds_load_b128 v[141:144], v124 offset:1568
	;; [unrolled: 1-line block ×5, first 2 shown]
	s_wait_loadcnt_dscnt 0x505
	v_mul_f64_e32 v[117:118], v[135:136], v[99:100]
	v_mul_f64_e32 v[99:100], v[133:134], v[99:100]
	s_wait_loadcnt_dscnt 0x404
	v_mul_f64_e32 v[157:158], v[139:140], v[103:104]
	v_mul_f64_e32 v[103:104], v[137:138], v[103:104]
	;; [unrolled: 3-line block ×6, first 2 shown]
	v_fma_f64 v[115:116], v[133:134], v[97:98], -v[117:118]
	v_fma_f64 v[117:118], v[135:136], v[97:98], v[99:100]
	v_fma_f64 v[97:98], v[137:138], v[101:102], -v[157:158]
	v_fma_f64 v[99:100], v[139:140], v[101:102], v[103:104]
	;; [unrolled: 2-line block ×6, first 2 shown]
	ds_store_b128 v124, v[115:118]
	ds_store_b128 v124, v[97:100] offset:784
	ds_store_b128 v124, v[101:104] offset:1568
	;; [unrolled: 1-line block ×5, first 2 shown]
	s_and_saveexec_b32 s2, vcc_lo
	s_cbranch_execz .LBB0_9
; %bb.8:
	s_wait_alu 0xfffe
	v_add_co_u32 v116, s0, s0, v96
	s_wait_alu 0xf1ff
	v_add_co_ci_u32_e64 v117, null, s1, 0, s0
	s_clause 0x5
	global_load_b128 v[96:99], v[116:117], off offset:672
	global_load_b128 v[100:103], v[116:117], off offset:1456
	;; [unrolled: 1-line block ×6, first 2 shown]
	ds_load_b128 v[129:132], v124 offset:672
	ds_load_b128 v[133:136], v124 offset:1456
	;; [unrolled: 1-line block ×6, first 2 shown]
	s_wait_loadcnt_dscnt 0x505
	v_mul_f64_e32 v[153:154], v[131:132], v[98:99]
	v_mul_f64_e32 v[98:99], v[129:130], v[98:99]
	s_wait_loadcnt_dscnt 0x404
	v_mul_f64_e32 v[155:156], v[135:136], v[102:103]
	v_mul_f64_e32 v[102:103], v[133:134], v[102:103]
	;; [unrolled: 3-line block ×6, first 2 shown]
	v_fma_f64 v[129:130], v[129:130], v[96:97], -v[153:154]
	v_fma_f64 v[131:132], v[131:132], v[96:97], v[98:99]
	v_fma_f64 v[96:97], v[133:134], v[100:101], -v[155:156]
	v_fma_f64 v[98:99], v[135:136], v[100:101], v[102:103]
	;; [unrolled: 2-line block ×6, first 2 shown]
	ds_store_b128 v124, v[129:132] offset:672
	ds_store_b128 v124, v[96:99] offset:1456
	;; [unrolled: 1-line block ×6, first 2 shown]
.LBB0_9:
	s_wait_alu 0xfffe
	s_or_b32 exec_lo, exec_lo, s2
	global_wb scope:SCOPE_SE
	s_wait_dscnt 0x0
	s_barrier_signal -1
	s_barrier_wait -1
	global_inv scope:SCOPE_SE
	ds_load_b128 v[104:107], v124
	ds_load_b128 v[108:111], v124 offset:784
	ds_load_b128 v[116:119], v124 offset:1568
	;; [unrolled: 1-line block ×5, first 2 shown]
	s_and_saveexec_b32 s0, vcc_lo
	s_cbranch_execz .LBB0_11
; %bb.10:
	v_lshl_add_u32 v48, v123, 4, v125
	ds_load_b128 v[92:95], v124 offset:672
	ds_load_b128 v[24:27], v48 offset:1456
	;; [unrolled: 1-line block ×6, first 2 shown]
.LBB0_11:
	s_wait_alu 0xfffe
	s_or_b32 exec_lo, exec_lo, s0
	s_wait_dscnt 0x0
	v_add_f64_e32 v[129:130], v[114:115], v[98:99]
	v_add_f64_e32 v[131:132], v[112:113], v[96:97]
	v_add_f64_e64 v[133:134], v[112:113], -v[96:97]
	s_mov_b32 s0, 0xe8584caa
	s_mov_b32 s1, 0xbfebb67a
	;; [unrolled: 1-line block ×3, first 2 shown]
	s_wait_alu 0xfffe
	s_mov_b32 s2, s0
	v_add_f64_e32 v[135:136], v[116:117], v[100:101]
	v_add_f64_e32 v[137:138], v[118:119], v[102:103]
	v_add_f64_e64 v[139:140], v[114:115], -v[98:99]
	v_add_f64_e64 v[143:144], v[118:119], -v[102:103]
	v_add_f64_e32 v[118:119], v[106:107], v[118:119]
	global_wb scope:SCOPE_SE
	s_barrier_signal -1
	s_barrier_wait -1
	global_inv scope:SCOPE_SE
	v_fma_f64 v[129:130], v[129:130], -0.5, v[110:111]
	v_fma_f64 v[131:132], v[131:132], -0.5, v[108:109]
	v_add_f64_e32 v[108:109], v[108:109], v[112:113]
	v_add_f64_e32 v[110:111], v[110:111], v[114:115]
	v_fma_f64 v[106:107], v[137:138], -0.5, v[106:107]
	v_add_f64_e32 v[102:103], v[118:119], v[102:103]
	s_wait_alu 0xfffe
	v_fma_f64 v[141:142], v[133:134], s[2:3], v[129:130]
	v_fma_f64 v[129:130], v[133:134], s[0:1], v[129:130]
	v_add_f64_e32 v[133:134], v[104:105], v[116:117]
	v_add_f64_e64 v[116:117], v[116:117], -v[100:101]
	v_fma_f64 v[104:105], v[135:136], -0.5, v[104:105]
	v_fma_f64 v[112:113], v[139:140], s[0:1], v[131:132]
	v_fma_f64 v[114:115], v[139:140], s[2:3], v[131:132]
	v_add_f64_e32 v[108:109], v[108:109], v[96:97]
	v_add_f64_e32 v[110:111], v[110:111], v[98:99]
	v_mul_f64_e32 v[131:132], s[0:1], v[141:142]
	v_mul_f64_e32 v[135:136], s[0:1], v[129:130]
	v_mul_f64_e32 v[137:138], 0.5, v[141:142]
	v_mul_f64_e32 v[129:130], -0.5, v[129:130]
	v_add_f64_e32 v[100:101], v[133:134], v[100:101]
	v_fma_f64 v[118:119], v[143:144], s[0:1], v[104:105]
	v_fma_f64 v[139:140], v[116:117], s[2:3], v[106:107]
	;; [unrolled: 1-line block ×4, first 2 shown]
	v_add_f64_e32 v[98:99], v[102:103], v[110:111]
	v_add_f64_e64 v[102:103], v[102:103], -v[110:111]
	v_fma_f64 v[116:117], v[112:113], 0.5, v[131:132]
	v_fma_f64 v[131:132], v[114:115], -0.5, v[135:136]
	v_fma_f64 v[135:136], v[112:113], s[2:3], v[137:138]
	v_fma_f64 v[129:130], v[114:115], s[2:3], v[129:130]
	v_add_f64_e32 v[96:97], v[100:101], v[108:109]
	v_add_f64_e64 v[100:101], v[100:101], -v[108:109]
	v_add_f64_e32 v[104:105], v[118:119], v[116:117]
	v_add_f64_e32 v[108:109], v[133:134], v[131:132]
	;; [unrolled: 1-line block ×4, first 2 shown]
	v_add_f64_e64 v[112:113], v[118:119], -v[116:117]
	v_add_f64_e64 v[114:115], v[139:140], -v[135:136]
	;; [unrolled: 1-line block ×4, first 2 shown]
	ds_store_b128 v127, v[96:99]
	ds_store_b128 v127, v[104:107] offset:16
	ds_store_b128 v127, v[108:111] offset:32
	;; [unrolled: 1-line block ×5, first 2 shown]
	s_and_saveexec_b32 s8, vcc_lo
	s_cbranch_execz .LBB0_13
; %bb.12:
	v_add_f64_e32 v[96:97], v[38:39], v[50:51]
	v_add_f64_e32 v[98:99], v[36:37], v[48:49]
	v_add_f64_e64 v[100:101], v[36:37], -v[48:49]
	v_add_f64_e32 v[102:103], v[42:43], v[46:47]
	v_add_f64_e64 v[104:105], v[38:39], -v[50:51]
	v_add_f64_e32 v[106:107], v[40:41], v[44:45]
	v_add_f64_e32 v[110:111], v[94:95], v[42:43]
	v_fma_f64 v[96:97], v[96:97], -0.5, v[26:27]
	v_fma_f64 v[98:99], v[98:99], -0.5, v[24:25]
	v_add_f64_e32 v[26:27], v[26:27], v[38:39]
	v_add_f64_e32 v[24:25], v[24:25], v[36:37]
	v_add_f64_e64 v[38:39], v[42:43], -v[46:47]
	v_fma_f64 v[36:37], v[102:103], -0.5, v[94:95]
	v_fma_f64 v[42:43], v[106:107], -0.5, v[92:93]
	v_add_f64_e32 v[46:47], v[110:111], v[46:47]
	v_fma_f64 v[108:109], v[100:101], s[0:1], v[96:97]
	v_fma_f64 v[96:97], v[100:101], s[2:3], v[96:97]
	v_add_f64_e64 v[100:101], v[40:41], -v[44:45]
	v_add_f64_e32 v[40:41], v[92:93], v[40:41]
	v_fma_f64 v[92:93], v[104:105], s[2:3], v[98:99]
	v_fma_f64 v[98:99], v[104:105], s[0:1], v[98:99]
	v_add_f64_e32 v[50:51], v[26:27], v[50:51]
	v_fma_f64 v[106:107], v[38:39], s[2:3], v[42:43]
	v_mul_f64_e32 v[94:95], -0.5, v[108:109]
	v_mul_f64_e32 v[102:103], 0.5, v[96:97]
	v_mul_f64_e32 v[96:97], s[0:1], v[96:97]
	v_mul_f64_e32 v[104:105], s[0:1], v[108:109]
	v_add_f64_e32 v[40:41], v[40:41], v[44:45]
	v_add_f64_e32 v[44:45], v[24:25], v[48:49]
	v_fma_f64 v[48:49], v[100:101], s[0:1], v[36:37]
	v_fma_f64 v[100:101], v[100:101], s[2:3], v[36:37]
	;; [unrolled: 1-line block ×3, first 2 shown]
	v_add_f64_e32 v[38:39], v[46:47], v[50:51]
	v_add_f64_e64 v[26:27], v[46:47], -v[50:51]
	v_fma_f64 v[94:95], v[92:93], s[2:3], v[94:95]
	v_fma_f64 v[102:103], v[98:99], s[2:3], v[102:103]
	v_fma_f64 v[96:97], v[98:99], 0.5, v[96:97]
	v_fma_f64 v[98:99], v[92:93], -0.5, v[104:105]
	v_add_f64_e32 v[36:37], v[40:41], v[44:45]
	v_add_f64_e64 v[24:25], v[40:41], -v[44:45]
	v_add_f64_e64 v[42:43], v[48:49], -v[94:95]
	v_add_f64_e32 v[46:47], v[48:49], v[94:95]
	v_add_f64_e32 v[50:51], v[100:101], v[102:103]
	;; [unrolled: 1-line block ×4, first 2 shown]
	v_add_f64_e64 v[94:95], v[100:101], -v[102:103]
	v_add_f64_e64 v[92:93], v[108:109], -v[96:97]
	;; [unrolled: 1-line block ×3, first 2 shown]
	v_lshl_add_u32 v96, v126, 4, v125
	ds_store_b128 v96, v[36:39]
	ds_store_b128 v96, v[48:51] offset:16
	ds_store_b128 v96, v[44:47] offset:32
	;; [unrolled: 1-line block ×5, first 2 shown]
.LBB0_13:
	s_wait_alu 0xfffe
	s_or_b32 exec_lo, exec_lo, s8
	global_wb scope:SCOPE_SE
	s_wait_dscnt 0x0
	s_barrier_signal -1
	s_barrier_wait -1
	global_inv scope:SCOPE_SE
	ds_load_b128 v[24:27], v124 offset:672
	ds_load_b128 v[36:39], v124 offset:1344
	ds_load_b128 v[40:43], v124 offset:4032
	ds_load_b128 v[44:47], v124 offset:3360
	ds_load_b128 v[48:51], v124 offset:2016
	ds_load_b128 v[92:95], v124 offset:2688
	s_mov_b32 s2, 0x37e14327
	s_mov_b32 s8, 0xe976ee23
	;; [unrolled: 1-line block ×14, first 2 shown]
	s_wait_dscnt 0x5
	v_mul_f64_e32 v[96:97], v[34:35], v[26:27]
	v_mul_f64_e32 v[34:35], v[34:35], v[24:25]
	s_wait_dscnt 0x4
	v_mul_f64_e32 v[98:99], v[30:31], v[38:39]
	v_mul_f64_e32 v[30:31], v[30:31], v[36:37]
	;; [unrolled: 3-line block ×6, first 2 shown]
	s_mov_b32 s19, 0xbfe77f67
	s_mov_b32 s23, 0x3fd5d0dc
	s_wait_alu 0xfffe
	s_mov_b32 s18, s16
	s_mov_b32 s22, s20
	;; [unrolled: 1-line block ×4, first 2 shown]
	v_fma_f64 v[24:25], v[32:33], v[24:25], v[96:97]
	v_fma_f64 v[26:27], v[32:33], v[26:27], -v[34:35]
	v_fma_f64 v[32:33], v[28:29], v[36:37], v[98:99]
	v_fma_f64 v[28:29], v[28:29], v[38:39], -v[30:31]
	;; [unrolled: 2-line block ×6, first 2 shown]
	v_add_f64_e32 v[48:49], v[24:25], v[30:31]
	v_add_f64_e32 v[50:51], v[26:27], v[34:35]
	;; [unrolled: 1-line block ×4, first 2 shown]
	v_add_f64_e64 v[32:33], v[32:33], -v[36:37]
	v_add_f64_e64 v[28:29], v[28:29], -v[38:39]
	v_add_f64_e32 v[36:37], v[40:41], v[44:45]
	v_add_f64_e32 v[38:39], v[42:43], v[46:47]
	v_add_f64_e64 v[40:41], v[44:45], -v[40:41]
	v_add_f64_e64 v[42:43], v[46:47], -v[42:43]
	;; [unrolled: 1-line block ×4, first 2 shown]
	v_add_f64_e32 v[24:25], v[52:53], v[48:49]
	v_add_f64_e32 v[26:27], v[54:55], v[50:51]
	v_add_f64_e64 v[44:45], v[48:49], -v[36:37]
	v_add_f64_e64 v[46:47], v[50:51], -v[38:39]
	;; [unrolled: 1-line block ×6, first 2 shown]
	v_add_f64_e32 v[32:33], v[40:41], v[32:33]
	v_add_f64_e32 v[28:29], v[42:43], v[28:29]
	v_add_f64_e64 v[40:41], v[30:31], -v[40:41]
	v_add_f64_e64 v[42:43], v[34:35], -v[42:43]
	v_add_f64_e64 v[48:49], v[52:53], -v[48:49]
	v_add_f64_e64 v[50:51], v[54:55], -v[50:51]
	v_add_f64_e32 v[64:65], v[36:37], v[24:25]
	v_add_f64_e32 v[66:67], v[38:39], v[26:27]
	v_add_f64_e64 v[36:37], v[36:37], -v[52:53]
	v_add_f64_e64 v[38:39], v[38:39], -v[54:55]
	ds_load_b128 v[24:27], v124
	v_mul_f64_e32 v[44:45], s[2:3], v[44:45]
	v_mul_f64_e32 v[46:47], s[2:3], v[46:47]
	;; [unrolled: 1-line block ×6, first 2 shown]
	v_add_f64_e32 v[30:31], v[32:33], v[30:31]
	v_add_f64_e32 v[28:29], v[28:29], v[34:35]
	global_wb scope:SCOPE_SE
	s_wait_dscnt 0x0
	s_barrier_signal -1
	s_barrier_wait -1
	global_inv scope:SCOPE_SE
	v_add_f64_e32 v[24:25], v[24:25], v[64:65]
	v_add_f64_e32 v[26:27], v[26:27], v[66:67]
	v_mul_f64_e32 v[52:53], s[12:13], v[36:37]
	v_mul_f64_e32 v[54:55], s[12:13], v[38:39]
	v_fma_f64 v[32:33], v[36:37], s[12:13], v[44:45]
	v_fma_f64 v[34:35], v[38:39], s[12:13], v[46:47]
	;; [unrolled: 1-line block ×4, first 2 shown]
	v_fma_f64 v[56:57], v[60:61], s[0:1], -v[56:57]
	v_fma_f64 v[58:59], v[62:63], s[0:1], -v[58:59]
	s_wait_alu 0xfffe
	v_fma_f64 v[40:41], v[40:41], s[22:23], -v[92:93]
	v_fma_f64 v[42:43], v[42:43], s[22:23], -v[94:95]
	;; [unrolled: 1-line block ×4, first 2 shown]
	v_fma_f64 v[60:61], v[64:65], s[14:15], v[24:25]
	v_fma_f64 v[62:63], v[66:67], s[14:15], v[26:27]
	v_fma_f64 v[48:49], v[48:49], s[16:17], -v[52:53]
	v_fma_f64 v[50:51], v[50:51], s[16:17], -v[54:55]
	v_fma_f64 v[52:53], v[30:31], s[24:25], v[36:37]
	v_fma_f64 v[54:55], v[28:29], s[24:25], v[38:39]
	;; [unrolled: 1-line block ×6, first 2 shown]
	v_add_f64_e32 v[92:93], v[32:33], v[60:61]
	v_add_f64_e32 v[94:95], v[34:35], v[62:63]
	;; [unrolled: 1-line block ×7, first 2 shown]
	v_add_f64_e64 v[30:31], v[94:95], -v[52:53]
	v_add_f64_e32 v[32:33], v[66:67], v[44:45]
	v_add_f64_e64 v[34:35], v[46:47], -v[64:65]
	v_add_f64_e64 v[36:37], v[40:41], -v[58:59]
	v_add_f64_e32 v[38:39], v[56:57], v[42:43]
	v_add_f64_e32 v[40:41], v[58:59], v[40:41]
	v_add_f64_e64 v[42:43], v[42:43], -v[56:57]
	v_add_f64_e64 v[44:45], v[44:45], -v[66:67]
	v_add_f64_e32 v[46:47], v[64:65], v[46:47]
	v_add_f64_e64 v[48:49], v[92:93], -v[54:55]
	v_add_f64_e32 v[50:51], v[52:53], v[94:95]
	ds_store_b128 v128, v[24:27]
	ds_store_b128 v128, v[28:31] offset:96
	ds_store_b128 v128, v[32:35] offset:192
	;; [unrolled: 1-line block ×6, first 2 shown]
	global_wb scope:SCOPE_SE
	s_wait_dscnt 0x0
	s_barrier_signal -1
	s_barrier_wait -1
	global_inv scope:SCOPE_SE
	ds_load_b128 v[24:27], v124 offset:672
	ds_load_b128 v[28:31], v124 offset:1344
	;; [unrolled: 1-line block ×6, first 2 shown]
	s_wait_dscnt 0x5
	v_mul_f64_e32 v[48:49], v[74:75], v[26:27]
	v_mul_f64_e32 v[50:51], v[74:75], v[24:25]
	s_wait_dscnt 0x4
	v_mul_f64_e32 v[52:53], v[70:71], v[30:31]
	v_mul_f64_e32 v[54:55], v[70:71], v[28:29]
	;; [unrolled: 3-line block ×6, first 2 shown]
	v_fma_f64 v[24:25], v[72:73], v[24:25], v[48:49]
	v_fma_f64 v[26:27], v[72:73], v[26:27], -v[50:51]
	v_fma_f64 v[28:29], v[68:69], v[28:29], v[52:53]
	v_fma_f64 v[30:31], v[68:69], v[30:31], -v[54:55]
	;; [unrolled: 2-line block ×6, first 2 shown]
	v_add_f64_e32 v[48:49], v[24:25], v[32:33]
	v_add_f64_e32 v[50:51], v[26:27], v[34:35]
	;; [unrolled: 1-line block ×4, first 2 shown]
	v_add_f64_e64 v[28:29], v[28:29], -v[36:37]
	v_add_f64_e64 v[30:31], v[30:31], -v[38:39]
	v_add_f64_e32 v[36:37], v[40:41], v[44:45]
	v_add_f64_e32 v[38:39], v[42:43], v[46:47]
	v_add_f64_e64 v[40:41], v[44:45], -v[40:41]
	v_add_f64_e64 v[42:43], v[46:47], -v[42:43]
	;; [unrolled: 1-line block ×4, first 2 shown]
	v_add_f64_e32 v[24:25], v[52:53], v[48:49]
	v_add_f64_e32 v[26:27], v[54:55], v[50:51]
	v_add_f64_e64 v[44:45], v[48:49], -v[36:37]
	v_add_f64_e64 v[46:47], v[50:51], -v[38:39]
	v_add_f64_e64 v[56:57], v[40:41], -v[28:29]
	v_add_f64_e64 v[58:59], v[42:43], -v[30:31]
	v_add_f64_e64 v[60:61], v[28:29], -v[32:33]
	v_add_f64_e64 v[62:63], v[30:31], -v[34:35]
	v_add_f64_e32 v[28:29], v[40:41], v[28:29]
	v_add_f64_e32 v[30:31], v[42:43], v[30:31]
	v_add_f64_e64 v[40:41], v[32:33], -v[40:41]
	v_add_f64_e64 v[42:43], v[34:35], -v[42:43]
	;; [unrolled: 1-line block ×4, first 2 shown]
	v_add_f64_e32 v[64:65], v[36:37], v[24:25]
	v_add_f64_e32 v[66:67], v[38:39], v[26:27]
	v_add_f64_e64 v[36:37], v[36:37], -v[52:53]
	v_add_f64_e64 v[38:39], v[38:39], -v[54:55]
	ds_load_b128 v[24:27], v124
	v_mul_f64_e32 v[44:45], s[2:3], v[44:45]
	v_mul_f64_e32 v[46:47], s[2:3], v[46:47]
	;; [unrolled: 1-line block ×6, first 2 shown]
	v_add_f64_e32 v[28:29], v[28:29], v[32:33]
	v_add_f64_e32 v[30:31], v[30:31], v[34:35]
	s_mov_b32 s2, 0x899406f7
	s_mov_b32 s3, 0x3f6bdd2b
	s_wait_dscnt 0x0
	v_add_f64_e32 v[24:25], v[24:25], v[64:65]
	v_add_f64_e32 v[26:27], v[26:27], v[66:67]
	v_mul_f64_e32 v[52:53], s[12:13], v[36:37]
	v_mul_f64_e32 v[54:55], s[12:13], v[38:39]
	v_fma_f64 v[32:33], v[36:37], s[12:13], v[44:45]
	v_fma_f64 v[34:35], v[38:39], s[12:13], v[46:47]
	;; [unrolled: 1-line block ×4, first 2 shown]
	v_fma_f64 v[56:57], v[60:61], s[0:1], -v[56:57]
	v_fma_f64 v[58:59], v[62:63], s[0:1], -v[58:59]
	v_fma_f64 v[40:41], v[40:41], s[22:23], -v[68:69]
	v_fma_f64 v[42:43], v[42:43], s[22:23], -v[70:71]
	v_fma_f64 v[44:45], v[48:49], s[18:19], -v[44:45]
	v_fma_f64 v[46:47], v[50:51], s[18:19], -v[46:47]
	v_fma_f64 v[60:61], v[64:65], s[14:15], v[24:25]
	v_fma_f64 v[62:63], v[66:67], s[14:15], v[26:27]
	v_fma_f64 v[48:49], v[48:49], s[16:17], -v[52:53]
	v_fma_f64 v[50:51], v[50:51], s[16:17], -v[54:55]
	v_fma_f64 v[52:53], v[28:29], s[24:25], v[36:37]
	v_fma_f64 v[54:55], v[30:31], s[24:25], v[38:39]
	;; [unrolled: 1-line block ×6, first 2 shown]
	v_add_f64_e32 v[68:69], v[32:33], v[60:61]
	v_add_f64_e32 v[70:71], v[34:35], v[62:63]
	;; [unrolled: 1-line block ×6, first 2 shown]
	v_mad_co_u64_u32 v[60:61], null, s6, v120, 0
	v_add_f64_e32 v[28:29], v[54:55], v[68:69]
	v_add_f64_e64 v[30:31], v[70:71], -v[52:53]
	v_add_f64_e32 v[32:33], v[66:67], v[44:45]
	v_add_f64_e64 v[34:35], v[46:47], -v[64:65]
	v_add_f64_e64 v[36:37], v[40:41], -v[58:59]
	v_add_f64_e32 v[38:39], v[56:57], v[42:43]
	v_add_f64_e32 v[40:41], v[58:59], v[40:41]
	v_add_f64_e64 v[42:43], v[42:43], -v[56:57]
	v_add_f64_e64 v[44:45], v[44:45], -v[66:67]
	v_add_f64_e32 v[46:47], v[64:65], v[46:47]
	v_add_f64_e64 v[48:49], v[68:69], -v[54:55]
	v_add_f64_e32 v[50:51], v[52:53], v[70:71]
	ds_store_b128 v124, v[24:27]
	ds_store_b128 v124, v[28:31] offset:672
	ds_store_b128 v124, v[32:35] offset:1344
	;; [unrolled: 1-line block ×6, first 2 shown]
	global_wb scope:SCOPE_SE
	s_wait_dscnt 0x0
	s_barrier_signal -1
	s_barrier_wait -1
	global_inv scope:SCOPE_SE
	ds_load_b128 v[24:27], v124
	ds_load_b128 v[28:31], v124 offset:784
	ds_load_b128 v[32:35], v124 offset:1568
	;; [unrolled: 1-line block ×5, first 2 shown]
	s_wait_dscnt 0x5
	v_mul_f64_e32 v[48:49], v[2:3], v[26:27]
	v_mul_f64_e32 v[2:3], v[2:3], v[24:25]
	s_wait_dscnt 0x4
	v_mul_f64_e32 v[50:51], v[6:7], v[30:31]
	v_mul_f64_e32 v[6:7], v[6:7], v[28:29]
	;; [unrolled: 3-line block ×6, first 2 shown]
	v_fma_f64 v[24:25], v[0:1], v[24:25], v[48:49]
	v_fma_f64 v[0:1], v[0:1], v[26:27], -v[2:3]
	v_fma_f64 v[26:27], v[4:5], v[28:29], v[50:51]
	v_fma_f64 v[28:29], v[4:5], v[30:31], -v[6:7]
	;; [unrolled: 2-line block ×6, first 2 shown]
	v_mov_b32_e32 v4, v61
	v_mad_co_u64_u32 v[2:3], null, s4, v123, 0
	s_delay_alu instid0(VALU_DEP_2) | instskip(SKIP_3) | instid1(VALU_DEP_1)
	v_mad_co_u64_u32 v[4:5], null, s7, v120, v[4:5]
	s_mul_u64 s[6:7], s[4:5], 49
	s_wait_alu 0xfffe
	s_lshl_b64 s[6:7], s[6:7], 4
	v_mad_co_u64_u32 v[5:6], null, s5, v123, v[3:4]
	v_mov_b32_e32 v61, v4
	s_delay_alu instid0(VALU_DEP_1) | instskip(NEXT) | instid1(VALU_DEP_3)
	v_lshlrev_b64_e32 v[46:47], 4, v[60:61]
	v_mov_b32_e32 v3, v5
	s_delay_alu instid0(VALU_DEP_1)
	v_lshlrev_b64_e32 v[48:49], 4, v[2:3]
	v_mul_f64_e32 v[2:3], s[2:3], v[24:25]
	v_mul_f64_e32 v[4:5], s[2:3], v[0:1]
	;; [unrolled: 1-line block ×4, first 2 shown]
	v_add_co_u32 v0, s0, s10, v46
	v_mul_f64_e32 v[10:11], s[2:3], v[30:31]
	v_mul_f64_e32 v[12:13], s[2:3], v[32:33]
	;; [unrolled: 1-line block ×4, first 2 shown]
	s_wait_alu 0xf1ff
	v_add_co_ci_u32_e64 v1, s0, s11, v47, s0
	v_mul_f64_e32 v[18:19], s[2:3], v[38:39]
	v_mul_f64_e32 v[20:21], s[2:3], v[40:41]
	;; [unrolled: 1-line block ×4, first 2 shown]
	v_add_co_u32 v26, s0, v0, v48
	s_wait_alu 0xf1ff
	v_add_co_ci_u32_e64 v27, s0, v1, v49, s0
	s_wait_alu 0xfffe
	s_delay_alu instid0(VALU_DEP_2) | instskip(SKIP_1) | instid1(VALU_DEP_2)
	v_add_co_u32 v28, s0, v26, s6
	s_wait_alu 0xf1ff
	v_add_co_ci_u32_e64 v29, s0, s7, v27, s0
	s_delay_alu instid0(VALU_DEP_2) | instskip(SKIP_1) | instid1(VALU_DEP_2)
	v_add_co_u32 v30, s0, v28, s6
	s_wait_alu 0xf1ff
	v_add_co_ci_u32_e64 v31, s0, s7, v29, s0
	;; [unrolled: 4-line block ×5, first 2 shown]
	s_clause 0x4
	global_store_b128 v[26:27], v[2:5], off
	global_store_b128 v[28:29], v[6:9], off
	;; [unrolled: 1-line block ×6, first 2 shown]
	s_and_b32 exec_lo, exec_lo, vcc_lo
	s_cbranch_execz .LBB0_15
; %bb.14:
	s_clause 0x5
	global_load_b128 v[2:5], v[121:122], off offset:672
	global_load_b128 v[6:9], v[121:122], off offset:1456
	;; [unrolled: 1-line block ×6, first 2 shown]
	ds_load_b128 v[26:29], v124 offset:672
	ds_load_b128 v[30:33], v124 offset:1456
	;; [unrolled: 1-line block ×6, first 2 shown]
	s_mul_i32 s0, s5, 0xfffff350
	s_wait_alu 0xfffe
	s_sub_co_i32 s0, s0, s4
	s_wait_loadcnt_dscnt 0x505
	v_mul_f64_e32 v[50:51], v[28:29], v[4:5]
	v_mul_f64_e32 v[4:5], v[26:27], v[4:5]
	s_wait_loadcnt_dscnt 0x404
	v_mul_f64_e32 v[52:53], v[32:33], v[8:9]
	v_mul_f64_e32 v[8:9], v[30:31], v[8:9]
	;; [unrolled: 3-line block ×6, first 2 shown]
	v_fma_f64 v[26:27], v[26:27], v[2:3], v[50:51]
	v_fma_f64 v[2:3], v[2:3], v[28:29], -v[4:5]
	v_fma_f64 v[4:5], v[30:31], v[6:7], v[52:53]
	v_fma_f64 v[6:7], v[6:7], v[32:33], -v[8:9]
	;; [unrolled: 2-line block ×6, first 2 shown]
	v_mad_co_u64_u32 v[24:25], null, 0xfffff350, s4, v[0:1]
	s_wait_alu 0xfffe
	s_delay_alu instid0(VALU_DEP_1)
	v_add_nc_u32_e32 v25, s0, v25
	v_mul_f64_e32 v[0:1], s[2:3], v[26:27]
	v_mul_f64_e32 v[2:3], s[2:3], v[2:3]
	;; [unrolled: 1-line block ×12, first 2 shown]
	v_add_co_u32 v26, vcc_lo, v24, s6
	s_wait_alu 0xfffd
	v_add_co_ci_u32_e32 v27, vcc_lo, s7, v25, vcc_lo
	s_delay_alu instid0(VALU_DEP_2) | instskip(SKIP_1) | instid1(VALU_DEP_2)
	v_add_co_u32 v28, vcc_lo, v26, s6
	s_wait_alu 0xfffd
	v_add_co_ci_u32_e32 v29, vcc_lo, s7, v27, vcc_lo
	s_delay_alu instid0(VALU_DEP_2) | instskip(SKIP_1) | instid1(VALU_DEP_2)
	;; [unrolled: 4-line block ×4, first 2 shown]
	v_add_co_u32 v34, vcc_lo, v32, s6
	s_wait_alu 0xfffd
	v_add_co_ci_u32_e32 v35, vcc_lo, s7, v33, vcc_lo
	global_store_b128 v[24:25], v[0:3], off
	global_store_b128 v[26:27], v[4:7], off
	;; [unrolled: 1-line block ×6, first 2 shown]
.LBB0_15:
	s_nop 0
	s_sendmsg sendmsg(MSG_DEALLOC_VGPRS)
	s_endpgm
	.section	.rodata,"a",@progbits
	.p2align	6, 0x0
	.amdhsa_kernel bluestein_single_fwd_len294_dim1_dp_op_CI_CI
		.amdhsa_group_segment_fixed_size 14112
		.amdhsa_private_segment_fixed_size 0
		.amdhsa_kernarg_size 104
		.amdhsa_user_sgpr_count 2
		.amdhsa_user_sgpr_dispatch_ptr 0
		.amdhsa_user_sgpr_queue_ptr 0
		.amdhsa_user_sgpr_kernarg_segment_ptr 1
		.amdhsa_user_sgpr_dispatch_id 0
		.amdhsa_user_sgpr_private_segment_size 0
		.amdhsa_wavefront_size32 1
		.amdhsa_uses_dynamic_stack 0
		.amdhsa_enable_private_segment 0
		.amdhsa_system_sgpr_workgroup_id_x 1
		.amdhsa_system_sgpr_workgroup_id_y 0
		.amdhsa_system_sgpr_workgroup_id_z 0
		.amdhsa_system_sgpr_workgroup_info 0
		.amdhsa_system_vgpr_workitem_id 0
		.amdhsa_next_free_vgpr 171
		.amdhsa_next_free_sgpr 30
		.amdhsa_reserve_vcc 1
		.amdhsa_float_round_mode_32 0
		.amdhsa_float_round_mode_16_64 0
		.amdhsa_float_denorm_mode_32 3
		.amdhsa_float_denorm_mode_16_64 3
		.amdhsa_fp16_overflow 0
		.amdhsa_workgroup_processor_mode 1
		.amdhsa_memory_ordered 1
		.amdhsa_forward_progress 0
		.amdhsa_round_robin_scheduling 0
		.amdhsa_exception_fp_ieee_invalid_op 0
		.amdhsa_exception_fp_denorm_src 0
		.amdhsa_exception_fp_ieee_div_zero 0
		.amdhsa_exception_fp_ieee_overflow 0
		.amdhsa_exception_fp_ieee_underflow 0
		.amdhsa_exception_fp_ieee_inexact 0
		.amdhsa_exception_int_div_zero 0
	.end_amdhsa_kernel
	.text
.Lfunc_end0:
	.size	bluestein_single_fwd_len294_dim1_dp_op_CI_CI, .Lfunc_end0-bluestein_single_fwd_len294_dim1_dp_op_CI_CI
                                        ; -- End function
	.section	.AMDGPU.csdata,"",@progbits
; Kernel info:
; codeLenInByte = 9096
; NumSgprs: 32
; NumVgprs: 171
; ScratchSize: 0
; MemoryBound: 0
; FloatMode: 240
; IeeeMode: 1
; LDSByteSize: 14112 bytes/workgroup (compile time only)
; SGPRBlocks: 3
; VGPRBlocks: 21
; NumSGPRsForWavesPerEU: 32
; NumVGPRsForWavesPerEU: 171
; Occupancy: 8
; WaveLimiterHint : 1
; COMPUTE_PGM_RSRC2:SCRATCH_EN: 0
; COMPUTE_PGM_RSRC2:USER_SGPR: 2
; COMPUTE_PGM_RSRC2:TRAP_HANDLER: 0
; COMPUTE_PGM_RSRC2:TGID_X_EN: 1
; COMPUTE_PGM_RSRC2:TGID_Y_EN: 0
; COMPUTE_PGM_RSRC2:TGID_Z_EN: 0
; COMPUTE_PGM_RSRC2:TIDIG_COMP_CNT: 0
	.text
	.p2alignl 7, 3214868480
	.fill 96, 4, 3214868480
	.type	__hip_cuid_37a84554d91f96a4,@object ; @__hip_cuid_37a84554d91f96a4
	.section	.bss,"aw",@nobits
	.globl	__hip_cuid_37a84554d91f96a4
__hip_cuid_37a84554d91f96a4:
	.byte	0                               ; 0x0
	.size	__hip_cuid_37a84554d91f96a4, 1

	.ident	"AMD clang version 19.0.0git (https://github.com/RadeonOpenCompute/llvm-project roc-6.4.0 25133 c7fe45cf4b819c5991fe208aaa96edf142730f1d)"
	.section	".note.GNU-stack","",@progbits
	.addrsig
	.addrsig_sym __hip_cuid_37a84554d91f96a4
	.amdgpu_metadata
---
amdhsa.kernels:
  - .args:
      - .actual_access:  read_only
        .address_space:  global
        .offset:         0
        .size:           8
        .value_kind:     global_buffer
      - .actual_access:  read_only
        .address_space:  global
        .offset:         8
        .size:           8
        .value_kind:     global_buffer
      - .actual_access:  read_only
        .address_space:  global
        .offset:         16
        .size:           8
        .value_kind:     global_buffer
      - .actual_access:  read_only
        .address_space:  global
        .offset:         24
        .size:           8
        .value_kind:     global_buffer
      - .actual_access:  read_only
        .address_space:  global
        .offset:         32
        .size:           8
        .value_kind:     global_buffer
      - .offset:         40
        .size:           8
        .value_kind:     by_value
      - .address_space:  global
        .offset:         48
        .size:           8
        .value_kind:     global_buffer
      - .address_space:  global
        .offset:         56
        .size:           8
        .value_kind:     global_buffer
      - .address_space:  global
        .offset:         64
        .size:           8
        .value_kind:     global_buffer
      - .address_space:  global
        .offset:         72
        .size:           8
        .value_kind:     global_buffer
      - .offset:         80
        .size:           4
        .value_kind:     by_value
      - .address_space:  global
        .offset:         88
        .size:           8
        .value_kind:     global_buffer
      - .address_space:  global
        .offset:         96
        .size:           8
        .value_kind:     global_buffer
    .group_segment_fixed_size: 14112
    .kernarg_segment_align: 8
    .kernarg_segment_size: 104
    .language:       OpenCL C
    .language_version:
      - 2
      - 0
    .max_flat_workgroup_size: 126
    .name:           bluestein_single_fwd_len294_dim1_dp_op_CI_CI
    .private_segment_fixed_size: 0
    .sgpr_count:     32
    .sgpr_spill_count: 0
    .symbol:         bluestein_single_fwd_len294_dim1_dp_op_CI_CI.kd
    .uniform_work_group_size: 1
    .uses_dynamic_stack: false
    .vgpr_count:     171
    .vgpr_spill_count: 0
    .wavefront_size: 32
    .workgroup_processor_mode: 1
amdhsa.target:   amdgcn-amd-amdhsa--gfx1201
amdhsa.version:
  - 1
  - 2
...

	.end_amdgpu_metadata
